;; amdgpu-corpus repo=ROCm/rocFFT kind=compiled arch=gfx1030 opt=O3
	.text
	.amdgcn_target "amdgcn-amd-amdhsa--gfx1030"
	.amdhsa_code_object_version 6
	.protected	fft_rtc_fwd_len1950_factors_13_5_10_3_wgs_195_tpt_195_dp_ip_CI_unitstride_sbrr_R2C_dirReg ; -- Begin function fft_rtc_fwd_len1950_factors_13_5_10_3_wgs_195_tpt_195_dp_ip_CI_unitstride_sbrr_R2C_dirReg
	.globl	fft_rtc_fwd_len1950_factors_13_5_10_3_wgs_195_tpt_195_dp_ip_CI_unitstride_sbrr_R2C_dirReg
	.p2align	8
	.type	fft_rtc_fwd_len1950_factors_13_5_10_3_wgs_195_tpt_195_dp_ip_CI_unitstride_sbrr_R2C_dirReg,@function
fft_rtc_fwd_len1950_factors_13_5_10_3_wgs_195_tpt_195_dp_ip_CI_unitstride_sbrr_R2C_dirReg: ; @fft_rtc_fwd_len1950_factors_13_5_10_3_wgs_195_tpt_195_dp_ip_CI_unitstride_sbrr_R2C_dirReg
; %bb.0:
	s_clause 0x2
	s_load_dwordx4 s[8:11], s[4:5], 0x0
	s_load_dwordx2 s[2:3], s[4:5], 0x50
	s_load_dwordx2 s[12:13], s[4:5], 0x18
	v_mul_u32_u24_e32 v1, 0x151, v0
	v_mov_b32_e32 v3, 0
	v_add_nc_u32_sdwa v5, s6, v1 dst_sel:DWORD dst_unused:UNUSED_PAD src0_sel:DWORD src1_sel:WORD_1
	v_mov_b32_e32 v1, 0
	v_mov_b32_e32 v6, v3
	v_mov_b32_e32 v2, 0
	s_waitcnt lgkmcnt(0)
	v_cmp_lt_u64_e64 s0, s[10:11], 2
	s_and_b32 vcc_lo, exec_lo, s0
	s_cbranch_vccnz .LBB0_8
; %bb.1:
	s_load_dwordx2 s[0:1], s[4:5], 0x10
	v_mov_b32_e32 v1, 0
	s_add_u32 s6, s12, 8
	v_mov_b32_e32 v2, 0
	s_addc_u32 s7, s13, 0
	s_mov_b64 s[16:17], 1
	s_waitcnt lgkmcnt(0)
	s_add_u32 s14, s0, 8
	s_addc_u32 s15, s1, 0
.LBB0_2:                                ; =>This Inner Loop Header: Depth=1
	s_load_dwordx2 s[18:19], s[14:15], 0x0
                                        ; implicit-def: $vgpr7_vgpr8
	s_mov_b32 s0, exec_lo
	s_waitcnt lgkmcnt(0)
	v_or_b32_e32 v4, s19, v6
	v_cmpx_ne_u64_e32 0, v[3:4]
	s_xor_b32 s1, exec_lo, s0
	s_cbranch_execz .LBB0_4
; %bb.3:                                ;   in Loop: Header=BB0_2 Depth=1
	v_cvt_f32_u32_e32 v4, s18
	v_cvt_f32_u32_e32 v7, s19
	s_sub_u32 s0, 0, s18
	s_subb_u32 s20, 0, s19
	v_fmac_f32_e32 v4, 0x4f800000, v7
	v_rcp_f32_e32 v4, v4
	v_mul_f32_e32 v4, 0x5f7ffffc, v4
	v_mul_f32_e32 v7, 0x2f800000, v4
	v_trunc_f32_e32 v7, v7
	v_fmac_f32_e32 v4, 0xcf800000, v7
	v_cvt_u32_f32_e32 v7, v7
	v_cvt_u32_f32_e32 v4, v4
	v_mul_lo_u32 v8, s0, v7
	v_mul_hi_u32 v9, s0, v4
	v_mul_lo_u32 v10, s20, v4
	v_add_nc_u32_e32 v8, v9, v8
	v_mul_lo_u32 v9, s0, v4
	v_add_nc_u32_e32 v8, v8, v10
	v_mul_hi_u32 v10, v4, v9
	v_mul_lo_u32 v11, v4, v8
	v_mul_hi_u32 v12, v4, v8
	v_mul_hi_u32 v13, v7, v9
	v_mul_lo_u32 v9, v7, v9
	v_mul_hi_u32 v14, v7, v8
	v_mul_lo_u32 v8, v7, v8
	v_add_co_u32 v10, vcc_lo, v10, v11
	v_add_co_ci_u32_e32 v11, vcc_lo, 0, v12, vcc_lo
	v_add_co_u32 v9, vcc_lo, v10, v9
	v_add_co_ci_u32_e32 v9, vcc_lo, v11, v13, vcc_lo
	v_add_co_ci_u32_e32 v10, vcc_lo, 0, v14, vcc_lo
	v_add_co_u32 v8, vcc_lo, v9, v8
	v_add_co_ci_u32_e32 v9, vcc_lo, 0, v10, vcc_lo
	v_add_co_u32 v4, vcc_lo, v4, v8
	v_add_co_ci_u32_e32 v7, vcc_lo, v7, v9, vcc_lo
	v_mul_hi_u32 v8, s0, v4
	v_mul_lo_u32 v10, s20, v4
	v_mul_lo_u32 v9, s0, v7
	v_add_nc_u32_e32 v8, v8, v9
	v_mul_lo_u32 v9, s0, v4
	v_add_nc_u32_e32 v8, v8, v10
	v_mul_hi_u32 v10, v4, v9
	v_mul_lo_u32 v11, v4, v8
	v_mul_hi_u32 v12, v4, v8
	v_mul_hi_u32 v13, v7, v9
	v_mul_lo_u32 v9, v7, v9
	v_mul_hi_u32 v14, v7, v8
	v_mul_lo_u32 v8, v7, v8
	v_add_co_u32 v10, vcc_lo, v10, v11
	v_add_co_ci_u32_e32 v11, vcc_lo, 0, v12, vcc_lo
	v_add_co_u32 v9, vcc_lo, v10, v9
	v_add_co_ci_u32_e32 v9, vcc_lo, v11, v13, vcc_lo
	v_add_co_ci_u32_e32 v10, vcc_lo, 0, v14, vcc_lo
	v_add_co_u32 v8, vcc_lo, v9, v8
	v_add_co_ci_u32_e32 v9, vcc_lo, 0, v10, vcc_lo
	v_add_co_u32 v4, vcc_lo, v4, v8
	v_add_co_ci_u32_e32 v11, vcc_lo, v7, v9, vcc_lo
	v_mul_hi_u32 v13, v5, v4
	v_mad_u64_u32 v[9:10], null, v6, v4, 0
	v_mad_u64_u32 v[7:8], null, v5, v11, 0
	;; [unrolled: 1-line block ×3, first 2 shown]
	v_add_co_u32 v4, vcc_lo, v13, v7
	v_add_co_ci_u32_e32 v7, vcc_lo, 0, v8, vcc_lo
	v_add_co_u32 v4, vcc_lo, v4, v9
	v_add_co_ci_u32_e32 v4, vcc_lo, v7, v10, vcc_lo
	v_add_co_ci_u32_e32 v7, vcc_lo, 0, v12, vcc_lo
	v_add_co_u32 v4, vcc_lo, v4, v11
	v_add_co_ci_u32_e32 v9, vcc_lo, 0, v7, vcc_lo
	v_mul_lo_u32 v10, s19, v4
	v_mad_u64_u32 v[7:8], null, s18, v4, 0
	v_mul_lo_u32 v11, s18, v9
	v_sub_co_u32 v7, vcc_lo, v5, v7
	v_add3_u32 v8, v8, v11, v10
	v_sub_nc_u32_e32 v10, v6, v8
	v_subrev_co_ci_u32_e64 v10, s0, s19, v10, vcc_lo
	v_add_co_u32 v11, s0, v4, 2
	v_add_co_ci_u32_e64 v12, s0, 0, v9, s0
	v_sub_co_u32 v13, s0, v7, s18
	v_sub_co_ci_u32_e32 v8, vcc_lo, v6, v8, vcc_lo
	v_subrev_co_ci_u32_e64 v10, s0, 0, v10, s0
	v_cmp_le_u32_e32 vcc_lo, s18, v13
	v_cmp_eq_u32_e64 s0, s19, v8
	v_cndmask_b32_e64 v13, 0, -1, vcc_lo
	v_cmp_le_u32_e32 vcc_lo, s19, v10
	v_cndmask_b32_e64 v14, 0, -1, vcc_lo
	v_cmp_le_u32_e32 vcc_lo, s18, v7
	;; [unrolled: 2-line block ×3, first 2 shown]
	v_cndmask_b32_e64 v15, 0, -1, vcc_lo
	v_cmp_eq_u32_e32 vcc_lo, s19, v10
	v_cndmask_b32_e64 v7, v15, v7, s0
	v_cndmask_b32_e32 v10, v14, v13, vcc_lo
	v_add_co_u32 v13, vcc_lo, v4, 1
	v_add_co_ci_u32_e32 v14, vcc_lo, 0, v9, vcc_lo
	v_cmp_ne_u32_e32 vcc_lo, 0, v10
	v_cndmask_b32_e32 v8, v14, v12, vcc_lo
	v_cndmask_b32_e32 v10, v13, v11, vcc_lo
	v_cmp_ne_u32_e32 vcc_lo, 0, v7
	v_cndmask_b32_e32 v8, v9, v8, vcc_lo
	v_cndmask_b32_e32 v7, v4, v10, vcc_lo
.LBB0_4:                                ;   in Loop: Header=BB0_2 Depth=1
	s_andn2_saveexec_b32 s0, s1
	s_cbranch_execz .LBB0_6
; %bb.5:                                ;   in Loop: Header=BB0_2 Depth=1
	v_cvt_f32_u32_e32 v4, s18
	s_sub_i32 s1, 0, s18
	v_rcp_iflag_f32_e32 v4, v4
	v_mul_f32_e32 v4, 0x4f7ffffe, v4
	v_cvt_u32_f32_e32 v4, v4
	v_mul_lo_u32 v7, s1, v4
	v_mul_hi_u32 v7, v4, v7
	v_add_nc_u32_e32 v4, v4, v7
	v_mul_hi_u32 v4, v5, v4
	v_mul_lo_u32 v7, v4, s18
	v_add_nc_u32_e32 v8, 1, v4
	v_sub_nc_u32_e32 v7, v5, v7
	v_subrev_nc_u32_e32 v9, s18, v7
	v_cmp_le_u32_e32 vcc_lo, s18, v7
	v_cndmask_b32_e32 v7, v7, v9, vcc_lo
	v_cndmask_b32_e32 v4, v4, v8, vcc_lo
	v_cmp_le_u32_e32 vcc_lo, s18, v7
	v_add_nc_u32_e32 v8, 1, v4
	v_cndmask_b32_e32 v7, v4, v8, vcc_lo
	v_mov_b32_e32 v8, v3
.LBB0_6:                                ;   in Loop: Header=BB0_2 Depth=1
	s_or_b32 exec_lo, exec_lo, s0
	s_load_dwordx2 s[0:1], s[6:7], 0x0
	v_mul_lo_u32 v4, v8, s18
	v_mul_lo_u32 v11, v7, s19
	v_mad_u64_u32 v[9:10], null, v7, s18, 0
	s_add_u32 s16, s16, 1
	s_addc_u32 s17, s17, 0
	s_add_u32 s6, s6, 8
	s_addc_u32 s7, s7, 0
	;; [unrolled: 2-line block ×3, first 2 shown]
	v_add3_u32 v4, v10, v11, v4
	v_sub_co_u32 v5, vcc_lo, v5, v9
	v_sub_co_ci_u32_e32 v4, vcc_lo, v6, v4, vcc_lo
	s_waitcnt lgkmcnt(0)
	v_mul_lo_u32 v6, s1, v5
	v_mul_lo_u32 v4, s0, v4
	v_mad_u64_u32 v[1:2], null, s0, v5, v[1:2]
	v_cmp_ge_u64_e64 s0, s[16:17], s[10:11]
	s_and_b32 vcc_lo, exec_lo, s0
	v_add3_u32 v2, v6, v2, v4
	s_cbranch_vccnz .LBB0_9
; %bb.7:                                ;   in Loop: Header=BB0_2 Depth=1
	v_mov_b32_e32 v5, v7
	v_mov_b32_e32 v6, v8
	s_branch .LBB0_2
.LBB0_8:
	v_mov_b32_e32 v8, v6
	v_mov_b32_e32 v7, v5
.LBB0_9:
	s_lshl_b64 s[0:1], s[10:11], 3
	v_mul_hi_u32 v3, 0x1501502, v0
	s_add_u32 s0, s12, s0
	s_addc_u32 s1, s13, s1
	s_load_dwordx2 s[0:1], s[0:1], 0x0
	s_load_dwordx2 s[4:5], s[4:5], 0x20
	v_mul_u32_u24_e32 v3, 0xc3, v3
	v_sub_nc_u32_e32 v60, v0, v3
	v_lshl_add_u32 v160, v60, 4, 0
	s_waitcnt lgkmcnt(0)
	v_mul_lo_u32 v4, s0, v8
	v_mul_lo_u32 v5, s1, v7
	v_mad_u64_u32 v[1:2], null, s0, v7, v[1:2]
	v_cmp_gt_u64_e32 vcc_lo, s[4:5], v[7:8]
	v_add3_u32 v2, v5, v2, v4
	v_lshlrev_b64 v[62:63], 4, v[1:2]
	s_and_saveexec_b32 s1, vcc_lo
	s_cbranch_execz .LBB0_11
; %bb.10:
	v_mov_b32_e32 v61, 0
	v_add_co_u32 v2, s0, s2, v62
	v_add_co_ci_u32_e64 v3, s0, s3, v63, s0
	v_lshlrev_b64 v[0:1], 4, v[60:61]
	v_add_co_u32 v16, s0, v2, v0
	v_add_co_ci_u32_e64 v17, s0, v3, v1, s0
	v_add_co_u32 v4, s0, 0x800, v16
	v_add_co_ci_u32_e64 v5, s0, 0, v17, s0
	;; [unrolled: 2-line block ×10, first 2 shown]
	s_clause 0x9
	global_load_dwordx4 v[0:3], v[16:17], off
	global_load_dwordx4 v[4:7], v[4:5], off offset:1072
	global_load_dwordx4 v[8:11], v[8:9], off offset:96
	;; [unrolled: 1-line block ×9, first 2 shown]
	s_waitcnt vmcnt(9)
	ds_write_b128 v160, v[0:3]
	s_waitcnt vmcnt(8)
	ds_write_b128 v160, v[4:7] offset:3120
	s_waitcnt vmcnt(7)
	ds_write_b128 v160, v[8:11] offset:6240
	;; [unrolled: 2-line block ×9, first 2 shown]
.LBB0_11:
	s_or_b32 exec_lo, exec_lo, s1
	s_waitcnt lgkmcnt(0)
	s_barrier
	buffer_gl0_inv
	ds_read_b128 v[8:11], v160 offset:28800
	ds_read_b128 v[20:23], v160 offset:2400
	;; [unrolled: 1-line block ×4, first 2 shown]
	ds_read_b128 v[32:35], v160
	s_mov_b32 s6, 0x42a4c3d2
	s_mov_b32 s12, 0x66966769
	;; [unrolled: 1-line block ×4, first 2 shown]
	ds_read_b128 v[40:43], v160 offset:7200
	ds_read_b128 v[48:51], v160 offset:9600
	;; [unrolled: 1-line block ×4, first 2 shown]
	s_mov_b32 s4, 0x1ea71119
	s_mov_b32 s18, 0x2ef20147
	;; [unrolled: 1-line block ×8, first 2 shown]
	s_waitcnt lgkmcnt(7)
	v_add_f64 v[102:103], v[22:23], -v[10:11]
	v_add_f64 v[84:85], v[20:21], -v[8:9]
	s_waitcnt lgkmcnt(5)
	v_add_f64 v[66:67], v[26:27], -v[14:15]
	v_add_f64 v[64:65], v[24:25], -v[12:13]
	v_add_f64 v[148:149], v[20:21], v[8:9]
	v_add_f64 v[154:155], v[22:23], v[10:11]
	;; [unrolled: 1-line block ×4, first 2 shown]
	s_mov_b32 s16, 0xb2365da1
	s_mov_b32 s14, 0x93053d00
	s_waitcnt lgkmcnt(1)
	v_add_f64 v[80:81], v[42:43], -v[18:19]
	v_add_f64 v[68:69], v[40:41], -v[16:17]
	s_mov_b32 s17, 0xbfd6b1d8
	s_mov_b32 s15, 0xbfef11f4
	;; [unrolled: 1-line block ×4, first 2 shown]
	v_add_f64 v[78:79], v[40:41], v[16:17]
	v_add_f64 v[120:121], v[42:43], v[18:19]
	s_waitcnt lgkmcnt(0)
	v_add_f64 v[92:93], v[50:51], -v[30:31]
	v_add_f64 v[70:71], v[48:49], -v[28:29]
	ds_read_b128 v[52:55], v160 offset:12000
	ds_read_b128 v[36:39], v160 offset:19200
	s_mov_b32 s24, 0x24c2f84
	v_mul_f64 v[150:151], v[102:103], s[6:7]
	v_mul_f64 v[152:153], v[84:85], s[6:7]
	;; [unrolled: 1-line block ×8, first 2 shown]
	s_mov_b32 s36, 0x4267c47c
	s_mov_b32 s25, 0x3fe5384d
	v_mul_f64 v[94:95], v[80:81], s[10:11]
	v_mul_f64 v[116:117], v[68:69], s[10:11]
	;; [unrolled: 1-line block ×4, first 2 shown]
	s_mov_b32 s37, 0x3fddbe06
	v_add_f64 v[82:83], v[48:49], v[28:29]
	v_add_f64 v[128:129], v[50:51], v[30:31]
	ds_read_b128 v[56:59], v160 offset:14400
	ds_read_b128 v[44:47], v160 offset:16800
	s_waitcnt lgkmcnt(2)
	v_add_f64 v[98:99], v[54:55], -v[38:39]
	v_add_f64 v[72:73], v[52:53], -v[36:37]
	v_mul_f64 v[104:105], v[92:93], s[24:25]
	v_mul_f64 v[108:109], v[70:71], s[24:25]
	v_fma_f64 v[0:1], v[148:149], s[4:5], v[150:151]
	v_fma_f64 v[2:3], v[154:155], s[4:5], -v[152:153]
	v_fma_f64 v[4:5], v[148:149], s[20:21], v[156:157]
	v_fma_f64 v[6:7], v[154:155], s[20:21], -v[158:159]
	;; [unrolled: 2-line block ×4, first 2 shown]
	v_mul_f64 v[142:143], v[92:93], s[36:37]
	v_mul_f64 v[146:147], v[70:71], s[36:37]
	v_fma_f64 v[106:107], v[78:79], s[14:15], v[94:95]
	v_fma_f64 v[112:113], v[120:121], s[14:15], -v[116:117]
	v_fma_f64 v[122:123], v[78:79], s[16:17], v[132:133]
	v_fma_f64 v[130:131], v[120:121], s[16:17], -v[144:145]
	s_mov_b32 s26, 0xd0032e0c
	s_mov_b32 s34, 0xe00740e9
	;; [unrolled: 1-line block ×6, first 2 shown]
	v_add_f64 v[136:137], v[54:55], v[38:39]
	v_mul_f64 v[110:111], v[98:99], s[30:31]
	v_add_f64 v[0:1], v[32:33], v[0:1]
	v_add_f64 v[2:3], v[34:35], v[2:3]
	;; [unrolled: 1-line block ×4, first 2 shown]
	v_mul_f64 v[118:119], v[72:73], s[30:31]
	v_mul_f64 v[124:125], v[98:99], s[6:7]
	;; [unrolled: 1-line block ×3, first 2 shown]
	v_fma_f64 v[161:162], v[82:83], s[26:27], v[104:105]
	v_fma_f64 v[163:164], v[128:129], s[26:27], -v[108:109]
	v_fma_f64 v[165:166], v[82:83], s[34:35], v[142:143]
	v_fma_f64 v[167:168], v[128:129], s[34:35], -v[146:147]
	s_mov_b32 s29, 0xbfe5384d
	s_mov_b32 s28, s24
	s_waitcnt lgkmcnt(0)
	v_add_f64 v[138:139], v[58:59], v[46:47]
	s_mov_b32 s33, exec_lo
	s_barrier
	buffer_gl0_inv
	v_add_f64 v[0:1], v[74:75], v[0:1]
	v_add_f64 v[2:3], v[88:89], v[2:3]
	;; [unrolled: 1-line block ×5, first 2 shown]
	v_add_f64 v[100:101], v[58:59], -v[46:47]
	v_add_f64 v[74:75], v[56:57], -v[44:45]
	v_add_f64 v[90:91], v[56:57], v[44:45]
	v_fma_f64 v[171:172], v[136:137], s[20:21], -v[118:119]
	v_fma_f64 v[175:176], v[136:137], s[4:5], -v[134:135]
	v_add_f64 v[0:1], v[106:107], v[0:1]
	v_add_f64 v[2:3], v[112:113], v[2:3]
	v_add_f64 v[4:5], v[122:123], v[4:5]
	v_add_f64 v[6:7], v[130:131], v[6:7]
	v_fma_f64 v[169:170], v[88:89], s[20:21], v[110:111]
	v_mul_f64 v[106:107], v[100:101], s[36:37]
	v_mul_f64 v[112:113], v[74:75], s[36:37]
	;; [unrolled: 1-line block ×4, first 2 shown]
	v_fma_f64 v[173:174], v[88:89], s[4:5], v[124:125]
	v_add_f64 v[0:1], v[161:162], v[0:1]
	v_add_f64 v[2:3], v[163:164], v[2:3]
	v_add_f64 v[4:5], v[165:166], v[4:5]
	v_add_f64 v[6:7], v[167:168], v[6:7]
	v_fma_f64 v[161:162], v[90:91], s[34:35], v[106:107]
	v_fma_f64 v[163:164], v[138:139], s[34:35], -v[112:113]
	v_fma_f64 v[165:166], v[90:91], s[26:27], v[122:123]
	v_fma_f64 v[167:168], v[138:139], s[26:27], -v[130:131]
	v_add_f64 v[0:1], v[169:170], v[0:1]
	v_add_f64 v[2:3], v[171:172], v[2:3]
	;; [unrolled: 1-line block ×8, first 2 shown]
	v_cmpx_gt_u32_e32 0x96, v60
	s_cbranch_execz .LBB0_13
; %bb.12:
	v_add_f64 v[22:23], v[34:35], v[22:23]
	v_add_f64 v[20:21], v[32:33], v[20:21]
	s_mov_b32 s1, 0x3fcea1e5
	s_mov_b32 s0, s10
	;; [unrolled: 1-line block ×4, first 2 shown]
	v_mul_f64 v[161:162], v[148:149], s[4:5]
	v_mul_f64 v[163:164], v[154:155], s[4:5]
	;; [unrolled: 1-line block ×9, first 2 shown]
	s_mov_b32 s39, 0x3fea55e2
	s_mov_b32 s38, s6
	v_mul_f64 v[185:186], v[114:115], s[20:21]
	v_mul_f64 v[181:182], v[98:99], s[18:19]
	;; [unrolled: 1-line block ×4, first 2 shown]
	v_add_f64 v[22:23], v[22:23], v[26:27]
	v_add_f64 v[20:21], v[20:21], v[24:25]
	v_mul_f64 v[24:25], v[154:155], s[14:15]
	v_mul_f64 v[26:27], v[102:103], s[10:11]
	;; [unrolled: 1-line block ×3, first 2 shown]
	v_add_f64 v[150:151], v[161:162], -v[150:151]
	v_add_f64 v[152:153], v[152:153], v[163:164]
	v_add_f64 v[156:157], v[165:166], -v[156:157]
	v_add_f64 v[158:159], v[158:159], v[167:168]
	v_fma_f64 v[167:168], v[78:79], s[26:27], v[171:172]
	v_fma_f64 v[171:172], v[78:79], s[26:27], -v[171:172]
	v_fma_f64 v[165:166], v[84:85], s[22:23], v[183:184]
	v_fma_f64 v[163:164], v[148:149], s[16:17], v[187:188]
	;; [unrolled: 1-line block ×3, first 2 shown]
	v_fma_f64 v[187:188], v[148:149], s[16:17], -v[187:188]
	v_add_f64 v[22:23], v[22:23], v[42:43]
	v_add_f64 v[20:21], v[20:21], v[40:41]
	v_mul_f64 v[40:41], v[114:115], s[34:35]
	v_fma_f64 v[42:43], v[84:85], s[0:1], v[24:25]
	v_fma_f64 v[24:25], v[84:85], s[10:11], v[24:25]
	;; [unrolled: 1-line block ×3, first 2 shown]
	v_add_f64 v[150:151], v[32:33], v[150:151]
	v_add_f64 v[152:153], v[34:35], v[152:153]
	;; [unrolled: 1-line block ×10, first 2 shown]
	v_mul_f64 v[48:49], v[66:67], s[36:37]
	v_fma_f64 v[50:51], v[148:149], s[14:15], v[26:27]
	v_fma_f64 v[26:27], v[148:149], s[14:15], -v[26:27]
	v_fma_f64 v[175:176], v[64:65], s[40:41], v[40:41]
	v_add_f64 v[42:43], v[34:35], v[42:43]
	v_fma_f64 v[40:41], v[64:65], s[36:37], v[40:41]
	v_add_f64 v[24:25], v[34:35], v[24:25]
	v_add_f64 v[161:162], v[34:35], v[161:162]
	;; [unrolled: 1-line block ×4, first 2 shown]
	v_mul_f64 v[54:55], v[120:121], s[26:27]
	v_fma_f64 v[177:178], v[76:77], s[34:35], v[48:49]
	v_add_f64 v[50:51], v[32:33], v[50:51]
	v_mul_f64 v[52:53], v[128:129], s[4:5]
	v_fma_f64 v[48:49], v[76:77], s[34:35], -v[48:49]
	v_add_f64 v[26:27], v[32:33], v[26:27]
	v_add_f64 v[42:43], v[175:176], v[42:43]
	v_fma_f64 v[175:176], v[84:85], s[24:25], v[173:174]
	v_fma_f64 v[173:174], v[84:85], s[28:29], v[173:174]
	;; [unrolled: 1-line block ×3, first 2 shown]
	v_add_f64 v[24:25], v[40:41], v[24:25]
	v_mul_f64 v[40:41], v[66:67], s[30:31]
	v_add_f64 v[22:23], v[22:23], v[58:59]
	v_mul_f64 v[58:59], v[102:103], s[40:41]
	;; [unrolled: 2-line block ×3, first 2 shown]
	v_fma_f64 v[102:103], v[68:69], s[24:25], v[54:55]
	v_add_f64 v[50:51], v[177:178], v[50:51]
	v_fma_f64 v[177:178], v[148:149], s[26:27], v[179:180]
	v_fma_f64 v[179:180], v[148:149], s[26:27], -v[179:180]
	v_add_f64 v[26:27], v[48:49], v[26:27]
	v_fma_f64 v[48:49], v[70:71], s[6:7], v[52:53]
	v_fma_f64 v[54:55], v[68:69], s[28:29], v[54:55]
	v_add_f64 v[175:176], v[34:35], v[175:176]
	v_add_f64 v[173:174], v[34:35], v[173:174]
	v_add_f64 v[34:35], v[34:35], v[84:85]
	v_fma_f64 v[52:53], v[70:71], s[38:39], v[52:53]
	v_add_f64 v[22:23], v[22:23], v[46:47]
	v_fma_f64 v[154:155], v[148:149], s[34:35], v[58:59]
	v_fma_f64 v[58:59], v[148:149], s[34:35], -v[58:59]
	v_mul_f64 v[148:149], v[120:121], s[4:5]
	v_add_f64 v[42:43], v[102:103], v[42:43]
	v_fma_f64 v[102:103], v[64:65], s[12:13], v[185:186]
	v_add_f64 v[50:51], v[167:168], v[50:51]
	v_fma_f64 v[167:168], v[82:83], s[4:5], v[56:57]
	v_add_f64 v[177:178], v[32:33], v[177:178]
	v_add_f64 v[179:180], v[32:33], v[179:180]
	v_fma_f64 v[185:186], v[64:65], s[30:31], v[185:186]
	v_add_f64 v[20:21], v[20:21], v[44:45]
	v_mul_f64 v[44:45], v[114:115], s[26:27]
	v_add_f64 v[24:25], v[54:55], v[24:25]
	v_add_f64 v[26:27], v[171:172], v[26:27]
	v_mul_f64 v[171:172], v[92:93], s[0:1]
	v_fma_f64 v[56:57], v[82:83], s[4:5], -v[56:57]
	v_fma_f64 v[54:55], v[72:73], s[22:23], v[169:170]
	v_fma_f64 v[169:170], v[72:73], s[18:19], v[169:170]
	v_mul_f64 v[46:47], v[66:67], s[24:25]
	v_mul_f64 v[66:67], v[66:67], s[6:7]
	v_add_f64 v[22:23], v[22:23], v[38:39]
	v_add_f64 v[84:85], v[32:33], v[154:155]
	;; [unrolled: 1-line block ×3, first 2 shown]
	v_fma_f64 v[58:59], v[76:77], s[20:21], v[40:41]
	v_mul_f64 v[154:155], v[80:81], s[6:7]
	v_fma_f64 v[40:41], v[76:77], s[20:21], -v[40:41]
	v_add_f64 v[42:43], v[48:49], v[42:43]
	v_mul_f64 v[48:49], v[128:129], s[14:15]
	v_add_f64 v[102:103], v[102:103], v[175:176]
	v_fma_f64 v[175:176], v[88:89], s[16:17], v[181:182]
	v_add_f64 v[50:51], v[167:168], v[50:51]
	v_fma_f64 v[167:168], v[68:69], s[38:39], v[148:149]
	v_fma_f64 v[148:149], v[68:69], s[6:7], v[148:149]
	v_add_f64 v[173:174], v[185:186], v[173:174]
	v_mul_f64 v[185:186], v[120:121], s[34:35]
	v_add_f64 v[24:25], v[52:53], v[24:25]
	v_add_f64 v[26:27], v[56:57], v[26:27]
	v_fma_f64 v[56:57], v[82:83], s[14:15], v[171:172]
	v_fma_f64 v[181:182], v[88:89], s[16:17], -v[181:182]
	v_fma_f64 v[171:172], v[82:83], s[14:15], -v[171:172]
	v_fma_f64 v[52:53], v[76:77], s[26:27], v[46:47]
	v_fma_f64 v[46:47], v[76:77], s[26:27], -v[46:47]
	v_add_f64 v[36:37], v[20:21], v[36:37]
	v_add_f64 v[22:23], v[22:23], v[30:31]
	v_add_f64 v[58:59], v[58:59], v[177:178]
	v_fma_f64 v[177:178], v[78:79], s[4:5], v[154:155]
	v_fma_f64 v[154:155], v[78:79], s[4:5], -v[154:155]
	v_add_f64 v[40:41], v[40:41], v[179:180]
	v_fma_f64 v[179:180], v[64:65], s[28:29], v[44:45]
	v_fma_f64 v[44:45], v[64:65], s[24:25], v[44:45]
	v_add_f64 v[42:43], v[54:55], v[42:43]
	v_add_f64 v[50:51], v[175:176], v[50:51]
	v_fma_f64 v[175:176], v[70:71], s[10:11], v[48:49]
	v_fma_f64 v[48:49], v[70:71], s[0:1], v[48:49]
	v_add_f64 v[148:149], v[148:149], v[173:174]
	v_add_f64 v[102:103], v[167:168], v[102:103]
	v_mul_f64 v[167:168], v[136:137], s[34:35]
	v_mul_f64 v[173:174], v[98:99], s[36:37]
	v_add_f64 v[24:25], v[169:170], v[24:25]
	v_mul_f64 v[169:170], v[120:121], s[16:17]
	v_add_f64 v[26:27], v[181:182], v[26:27]
	v_mul_f64 v[54:55], v[80:81], s[36:37]
	v_mul_f64 v[80:81], v[80:81], s[12:13]
	v_add_f64 v[52:53], v[52:53], v[163:164]
	v_add_f64 v[46:47], v[46:47], v[187:188]
	;; [unrolled: 1-line block ×3, first 2 shown]
	v_mul_f64 v[187:188], v[136:137], s[4:5]
	v_add_f64 v[58:59], v[177:178], v[58:59]
	v_mul_f64 v[177:178], v[114:115], s[14:15]
	v_add_f64 v[40:41], v[154:155], v[40:41]
	v_mul_f64 v[154:155], v[128:129], s[20:21]
	v_add_f64 v[165:166], v[179:180], v[165:166]
	v_fma_f64 v[179:180], v[68:69], s[40:41], v[185:186]
	v_add_f64 v[44:45], v[44:45], v[183:184]
	v_fma_f64 v[185:186], v[68:69], s[36:37], v[185:186]
	v_mul_f64 v[183:184], v[92:93], s[12:13]
	v_add_f64 v[48:49], v[48:49], v[148:149]
	v_mul_f64 v[148:149], v[114:115], s[16:17]
	v_mul_f64 v[114:115], v[114:115], s[4:5]
	v_add_f64 v[102:103], v[175:176], v[102:103]
	v_fma_f64 v[175:176], v[72:73], s[40:41], v[167:168]
	v_fma_f64 v[167:168], v[72:73], s[36:37], v[167:168]
	v_add_f64 v[144:145], v[144:145], v[169:170]
	v_mul_f64 v[169:170], v[120:121], s[14:15]
	v_mul_f64 v[120:121], v[120:121], s[20:21]
	v_fma_f64 v[163:164], v[78:79], s[34:35], v[54:55]
	v_mul_f64 v[92:93], v[92:93], s[18:19]
	v_fma_f64 v[54:55], v[78:79], s[34:35], -v[54:55]
	v_add_f64 v[18:19], v[22:23], v[18:19]
	v_add_f64 v[56:57], v[56:57], v[58:59]
	v_mul_f64 v[58:59], v[76:77], s[16:17]
	v_add_f64 v[140:141], v[140:141], v[177:178]
	v_fma_f64 v[181:182], v[70:71], s[30:31], v[154:155]
	v_fma_f64 v[154:155], v[70:71], s[12:13], v[154:155]
	v_add_f64 v[40:41], v[171:172], v[40:41]
	v_mul_f64 v[171:172], v[76:77], s[14:15]
	v_add_f64 v[44:45], v[185:186], v[44:45]
	v_mul_f64 v[185:186], v[138:139], s[20:21]
	v_fma_f64 v[177:178], v[88:89], s[34:35], v[173:174]
	v_fma_f64 v[173:174], v[88:89], s[34:35], -v[173:174]
	v_add_f64 v[96:97], v[96:97], v[148:149]
	v_fma_f64 v[38:39], v[64:65], s[6:7], v[114:115]
	v_add_f64 v[165:166], v[179:180], v[165:166]
	v_mul_f64 v[179:180], v[78:79], s[14:15]
	v_fma_f64 v[64:65], v[64:65], s[38:39], v[114:115]
	v_add_f64 v[102:103], v[175:176], v[102:103]
	v_mul_f64 v[175:176], v[128:129], s[34:35]
	v_add_f64 v[48:49], v[167:168], v[48:49]
	v_mul_f64 v[167:168], v[82:83], s[26:27]
	v_add_f64 v[52:53], v[163:164], v[52:53]
	v_fma_f64 v[163:164], v[82:83], s[20:21], v[183:184]
	v_add_f64 v[46:47], v[54:55], v[46:47]
	v_add_f64 v[58:59], v[58:59], -v[86:87]
	v_fma_f64 v[86:87], v[76:77], s[4:5], -v[66:67]
	v_add_f64 v[140:141], v[140:141], v[158:159]
	v_mul_f64 v[158:159], v[78:79], s[16:17]
	v_fma_f64 v[66:67], v[76:77], s[4:5], v[66:67]
	v_add_f64 v[126:127], v[171:172], -v[126:127]
	v_add_f64 v[44:45], v[154:155], v[44:45]
	v_fma_f64 v[154:155], v[74:75], s[12:13], v[185:186]
	v_add_f64 v[56:57], v[177:178], v[56:57]
	v_add_f64 v[173:174], v[173:174], v[40:41]
	v_mul_f64 v[40:41], v[128:129], s[26:27]
	v_add_f64 v[96:97], v[96:97], v[152:153]
	v_mul_f64 v[128:129], v[128:129], s[16:17]
	v_add_f64 v[34:35], v[38:39], v[34:35]
	v_fma_f64 v[38:39], v[68:69], s[12:13], v[120:121]
	v_add_f64 v[94:95], v[179:180], -v[94:95]
	v_mul_f64 v[177:178], v[82:83], s[34:35]
	v_fma_f64 v[68:69], v[68:69], s[30:31], v[120:121]
	v_add_f64 v[64:65], v[64:65], v[161:162]
	v_add_f64 v[165:166], v[181:182], v[165:166]
	v_mul_f64 v[181:182], v[136:137], s[20:21]
	v_add_f64 v[146:147], v[146:147], v[175:176]
	v_add_f64 v[58:59], v[58:59], v[150:151]
	v_fma_f64 v[150:151], v[78:79], s[20:21], -v[80:81]
	v_add_f64 v[32:33], v[86:87], v[32:33]
	v_add_f64 v[132:133], v[158:159], -v[132:133]
	v_fma_f64 v[78:79], v[78:79], s[20:21], v[80:81]
	v_add_f64 v[126:127], v[126:127], v[156:157]
	v_add_f64 v[66:67], v[66:67], v[84:85]
	;; [unrolled: 1-line block ×5, first 2 shown]
	v_mul_f64 v[116:117], v[136:137], s[14:15]
	v_mul_f64 v[152:153], v[98:99], s[0:1]
	v_add_f64 v[40:41], v[108:109], v[40:41]
	v_add_f64 v[84:85], v[167:168], -v[104:105]
	v_mul_f64 v[98:99], v[98:99], s[28:29]
	v_fma_f64 v[104:105], v[70:71], s[18:19], v[128:129]
	v_add_f64 v[34:35], v[38:39], v[34:35]
	v_fma_f64 v[38:39], v[82:83], s[16:17], -v[92:93]
	v_mul_f64 v[171:172], v[88:89], s[20:21]
	v_add_f64 v[52:53], v[163:164], v[52:53]
	v_mul_f64 v[163:164], v[88:89], s[4:5]
	v_add_f64 v[142:143], v[177:178], -v[142:143]
	v_fma_f64 v[179:180], v[82:83], s[20:21], -v[183:184]
	v_fma_f64 v[70:71], v[70:71], s[22:23], v[128:129]
	v_add_f64 v[30:31], v[150:151], v[32:33]
	v_add_f64 v[32:33], v[94:95], v[58:59]
	;; [unrolled: 1-line block ×4, first 2 shown]
	v_fma_f64 v[68:69], v[82:83], s[16:17], v[92:93]
	v_add_f64 v[66:67], v[78:79], v[66:67]
	v_add_f64 v[42:43], v[42:43], v[96:97]
	v_mul_f64 v[96:97], v[136:137], s[26:27]
	v_add_f64 v[16:17], v[28:29], v[16:17]
	v_mul_f64 v[175:176], v[100:101], s[30:31]
	v_mul_f64 v[148:149], v[138:139], s[34:35]
	v_mul_f64 v[158:159], v[100:101], s[18:19]
	v_mul_f64 v[86:87], v[138:139], s[4:5]
	v_fma_f64 v[120:121], v[72:73], s[10:11], v[116:117]
	v_mul_f64 v[161:162], v[100:101], s[38:39]
	v_fma_f64 v[116:117], v[72:73], s[0:1], v[116:117]
	v_add_f64 v[58:59], v[134:135], v[187:188]
	v_add_f64 v[94:95], v[146:147], v[140:141]
	;; [unrolled: 1-line block ×3, first 2 shown]
	v_mul_f64 v[82:83], v[138:139], s[14:15]
	v_mul_f64 v[92:93], v[100:101], s[10:11]
	v_add_f64 v[34:35], v[104:105], v[34:35]
	v_fma_f64 v[104:105], v[88:89], s[26:27], -v[98:99]
	v_add_f64 v[22:23], v[38:39], v[30:31]
	v_mul_f64 v[144:145], v[90:91], s[34:35]
	v_add_f64 v[28:29], v[84:85], v[32:33]
	v_mul_f64 v[156:157], v[90:91], s[26:27]
	v_add_f64 v[108:109], v[163:164], -v[124:125]
	v_add_f64 v[40:41], v[40:41], v[42:43]
	v_fma_f64 v[100:101], v[72:73], s[28:29], v[96:97]
	v_add_f64 v[42:43], v[171:172], -v[110:111]
	v_add_f64 v[30:31], v[142:143], v[36:37]
	v_fma_f64 v[54:55], v[88:89], s[14:15], -v[152:153]
	v_add_f64 v[32:33], v[179:180], v[46:47]
	v_mul_f64 v[177:178], v[138:139], s[16:17]
	v_fma_f64 v[80:81], v[88:89], s[14:15], v[152:153]
	v_fma_f64 v[72:73], v[72:73], s[24:25], v[96:97]
	v_add_f64 v[64:65], v[70:71], v[64:65]
	v_fma_f64 v[70:71], v[88:89], s[26:27], v[98:99]
	v_add_f64 v[66:67], v[68:69], v[66:67]
	v_add_f64 v[96:97], v[18:19], v[14:15]
	;; [unrolled: 1-line block ×3, first 2 shown]
	v_fma_f64 v[36:37], v[74:75], s[38:39], v[86:87]
	v_add_f64 v[38:39], v[116:117], v[44:45]
	v_add_f64 v[58:59], v[58:59], v[94:95]
	;; [unrolled: 1-line block ×3, first 2 shown]
	v_fma_f64 v[88:89], v[74:75], s[10:11], v[82:83]
	v_fma_f64 v[94:95], v[90:91], s[14:15], -v[92:93]
	v_add_f64 v[22:23], v[104:105], v[22:23]
	v_add_f64 v[46:47], v[130:131], v[189:190]
	;; [unrolled: 1-line block ×4, first 2 shown]
	v_add_f64 v[78:79], v[144:145], -v[106:107]
	v_add_f64 v[42:43], v[42:43], v[28:29]
	v_add_f64 v[68:69], v[156:157], -v[122:123]
	v_add_f64 v[30:31], v[108:109], v[30:31]
	v_fma_f64 v[169:170], v[90:91], s[20:21], -v[175:176]
	v_fma_f64 v[44:45], v[90:91], s[4:5], -v[161:162]
	v_add_f64 v[54:55], v[54:55], v[32:33]
	v_fma_f64 v[114:115], v[90:91], s[20:21], v[175:176]
	v_fma_f64 v[154:155], v[74:75], s[30:31], v[185:186]
	;; [unrolled: 1-line block ×5, first 2 shown]
	v_fma_f64 v[158:159], v[90:91], s[16:17], -v[158:159]
	v_fma_f64 v[86:87], v[74:75], s[6:7], v[86:87]
	v_add_f64 v[98:99], v[120:121], v[165:166]
	v_fma_f64 v[100:101], v[90:91], s[4:5], v[161:162]
	v_add_f64 v[52:53], v[80:81], v[52:53]
	;; [unrolled: 2-line block ×4, first 2 shown]
	v_add_f64 v[10:11], v[96:97], v[10:11]
	v_add_f64 v[8:9], v[16:17], v[8:9]
	;; [unrolled: 1-line block ×20, first 2 shown]
	v_mad_u32_u24 v16, 0xc0, v60, v160
	v_add_f64 v[50:51], v[72:73], v[66:67]
	ds_write_b128 v16, v[8:11]
	ds_write_b128 v16, v[38:41] offset:16
	ds_write_b128 v16, v[34:37] offset:32
	;; [unrolled: 1-line block ×12, first 2 shown]
.LBB0_13:
	s_or_b32 exec_lo, exec_lo, s33
	v_and_b32_e32 v59, 0xff, v60
	v_add_nc_u32_e32 v48, 0xc3, v60
	v_mov_b32_e32 v9, 0x4ec5
	v_mov_b32_e32 v28, 6
	s_waitcnt lgkmcnt(0)
	v_mul_lo_u16 v8, 0x4f, v59
	s_barrier
	v_mul_u32_u24_sdwa v11, v48, v9 dst_sel:DWORD dst_unused:UNUSED_PAD src0_sel:WORD_0 src1_sel:DWORD
	buffer_gl0_inv
	s_mov_b32 s0, 0x134454ff
	v_lshrrev_b16 v8, 10, v8
	s_mov_b32 s1, 0x3fee6f0e
	s_mov_b32 s11, 0xbfee6f0e
	s_mov_b32 s10, s0
	s_mov_b32 s4, 0x4755a5e
	v_mul_lo_u16 v10, v8, 13
	s_mov_b32 s5, 0x3fe2cf23
	s_mov_b32 s13, 0xbfe2cf23
	;; [unrolled: 1-line block ×4, first 2 shown]
	v_sub_nc_u16 v9, v60, v10
	v_lshrrev_b32_e32 v10, 18, v11
	s_mov_b32 s7, 0x3fd3c6ef
	v_mov_b32_e32 v61, 9
	s_mov_b32 s14, 0x9b97f4a8
	v_lshlrev_b32_sdwa v24, v28, v9 dst_sel:DWORD dst_unused:UNUSED_PAD src0_sel:DWORD src1_sel:BYTE_0
	v_mul_lo_u16 v11, v10, 13
	v_mul_u32_u24_e32 v10, 0x410, v10
	s_mov_b32 s15, 0x3fe9e377
	s_clause 0x1
	global_load_dwordx4 v[12:15], v24, s[8:9]
	global_load_dwordx4 v[16:19], v24, s[8:9] offset:16
	v_sub_nc_u16 v11, v48, v11
	s_clause 0x1
	global_load_dwordx4 v[20:23], v24, s[8:9] offset:32
	global_load_dwordx4 v[24:27], v24, s[8:9] offset:48
	v_lshlrev_b32_sdwa v40, v28, v11 dst_sel:DWORD dst_unused:UNUSED_PAD src0_sel:DWORD src1_sel:WORD_0
	s_clause 0x3
	global_load_dwordx4 v[28:31], v40, s[8:9]
	global_load_dwordx4 v[32:35], v40, s[8:9] offset:16
	global_load_dwordx4 v[36:39], v40, s[8:9] offset:32
	;; [unrolled: 1-line block ×3, first 2 shown]
	ds_read_b128 v[44:47], v160 offset:6240
	ds_read_b128 v[49:52], v160 offset:12480
	;; [unrolled: 1-line block ×8, first 2 shown]
	ds_read_b128 v[84:87], v160
	ds_read_b128 v[88:91], v160 offset:3120
	s_waitcnt vmcnt(0) lgkmcnt(0)
	s_barrier
	buffer_gl0_inv
	v_mul_f64 v[57:58], v[46:47], v[14:15]
	v_mul_f64 v[14:15], v[44:45], v[14:15]
	;; [unrolled: 1-line block ×16, first 2 shown]
	v_fma_f64 v[44:45], v[44:45], v[12:13], -v[57:58]
	v_fma_f64 v[14:15], v[46:47], v[12:13], v[14:15]
	v_fma_f64 v[46:47], v[49:50], v[16:17], -v[92:93]
	v_fma_f64 v[16:17], v[51:52], v[16:17], v[18:19]
	;; [unrolled: 2-line block ×3, first 2 shown]
	v_fma_f64 v[22:23], v[66:67], v[24:25], v[96:97]
	v_fma_f64 v[24:25], v[64:65], v[24:25], -v[26:27]
	v_mul_lo_u16 v13, 0xfd, v59
	v_fma_f64 v[26:27], v[68:69], v[28:29], -v[98:99]
	v_fma_f64 v[28:29], v[70:71], v[28:29], v[30:31]
	v_fma_f64 v[30:31], v[72:73], v[32:33], -v[100:101]
	v_fma_f64 v[32:33], v[74:75], v[32:33], v[34:35]
	;; [unrolled: 2-line block ×4, first 2 shown]
	v_lshrrev_b16 v13, 14, v13
	v_mov_b32_e32 v59, 0x410
	v_mov_b32_e32 v12, 4
	v_add_f64 v[42:43], v[84:85], v[44:45]
	v_add_f64 v[70:71], v[86:87], v[14:15]
	v_add_f64 v[55:56], v[44:45], -v[46:47]
	v_add_f64 v[66:67], v[46:47], -v[44:45]
	v_add_f64 v[49:50], v[46:47], v[18:19]
	v_add_f64 v[72:73], v[16:17], v[20:21]
	;; [unrolled: 1-line block ×4, first 2 shown]
	v_add_f64 v[57:58], v[24:25], -v[18:19]
	v_add_f64 v[51:52], v[14:15], -v[22:23]
	;; [unrolled: 1-line block ×5, first 2 shown]
	v_add_f64 v[92:93], v[30:31], v[34:35]
	v_add_f64 v[100:101], v[32:33], v[36:37]
	;; [unrolled: 1-line block ×4, first 2 shown]
	v_add_f64 v[82:83], v[20:21], -v[22:23]
	v_add_f64 v[94:95], v[88:89], v[26:27]
	v_add_f64 v[114:115], v[90:91], v[28:29]
	v_add_f64 v[53:54], v[16:17], -v[20:21]
	v_add_f64 v[74:75], v[46:47], -v[18:19]
	;; [unrolled: 1-line block ×6, first 2 shown]
	v_fma_f64 v[49:50], v[49:50], -0.5, v[84:85]
	v_fma_f64 v[72:73], v[72:73], -0.5, v[86:87]
	v_fma_f64 v[80:81], v[80:81], -0.5, v[86:87]
	v_fma_f64 v[64:65], v[64:65], -0.5, v[84:85]
	v_add_f64 v[55:56], v[55:56], v[57:58]
	v_add_f64 v[68:69], v[18:19], -v[24:25]
	v_add_f64 v[78:79], v[22:23], -v[20:21]
	;; [unrolled: 1-line block ×4, first 2 shown]
	v_fma_f64 v[92:93], v[92:93], -0.5, v[88:89]
	v_fma_f64 v[57:58], v[100:101], -0.5, v[90:91]
	v_add_f64 v[116:117], v[30:31], -v[34:35]
	v_add_f64 v[42:43], v[42:43], v[46:47]
	v_fma_f64 v[46:47], v[96:97], -0.5, v[88:89]
	v_fma_f64 v[88:89], v[102:103], -0.5, v[90:91]
	v_add_f64 v[16:17], v[70:71], v[16:17]
	v_add_f64 v[118:119], v[28:29], -v[32:33]
	v_add_f64 v[28:29], v[32:33], -v[28:29]
	v_add_f64 v[86:87], v[36:37], -v[40:41]
	v_add_f64 v[70:71], v[14:15], v[82:83]
	v_add_f64 v[14:15], v[94:95], v[30:31]
	;; [unrolled: 1-line block ×3, first 2 shown]
	v_fma_f64 v[32:33], v[51:52], s[0:1], v[49:50]
	v_fma_f64 v[49:50], v[51:52], s[10:11], v[49:50]
	;; [unrolled: 1-line block ×8, first 2 shown]
	v_add_f64 v[84:85], v[40:41], -v[36:37]
	v_fma_f64 v[96:97], v[98:99], s[0:1], v[92:93]
	v_fma_f64 v[102:103], v[26:27], s[10:11], v[57:58]
	v_add_f64 v[112:113], v[34:35], -v[38:39]
	v_add_f64 v[66:67], v[66:67], v[68:69]
	v_add_f64 v[68:69], v[76:77], v[78:79]
	;; [unrolled: 1-line block ×3, first 2 shown]
	v_fma_f64 v[100:101], v[104:105], s[10:11], v[46:47]
	v_fma_f64 v[106:107], v[116:117], s[0:1], v[88:89]
	v_fma_f64 v[46:47], v[104:105], s[0:1], v[46:47]
	v_fma_f64 v[88:89], v[116:117], s[10:11], v[88:89]
	v_fma_f64 v[92:93], v[98:99], s[10:11], v[92:93]
	v_fma_f64 v[57:58], v[26:27], s[0:1], v[57:58]
	v_add_f64 v[18:19], v[42:43], v[18:19]
	v_add_f64 v[20:21], v[16:17], v[20:21]
	;; [unrolled: 1-line block ×4, first 2 shown]
	v_fma_f64 v[32:33], v[53:54], s[4:5], v[32:33]
	v_fma_f64 v[34:35], v[53:54], s[12:13], v[49:50]
	;; [unrolled: 1-line block ×3, first 2 shown]
	v_add_f64 v[30:31], v[30:31], v[36:37]
	v_fma_f64 v[36:37], v[51:52], s[4:5], v[82:83]
	v_fma_f64 v[53:54], v[44:45], s[12:13], v[94:95]
	;; [unrolled: 1-line block ×5, first 2 shown]
	v_add_f64 v[84:85], v[118:119], v[84:85]
	v_fma_f64 v[64:65], v[104:105], s[4:5], v[96:97]
	v_fma_f64 v[80:81], v[116:117], s[12:13], v[102:103]
	v_add_f64 v[78:79], v[110:111], v[112:113]
	v_fma_f64 v[74:75], v[98:99], s[4:5], v[100:101]
	v_fma_f64 v[82:83], v[26:27], s[12:13], v[106:107]
	;; [unrolled: 1-line block ×6, first 2 shown]
	v_add_f64 v[15:16], v[18:19], v[24:25]
	v_add_f64 v[17:18], v[20:21], v[22:23]
	v_mul_lo_u16 v14, 0x41, v13
	v_fma_f64 v[23:24], v[55:56], s[6:7], v[32:33]
	v_add_f64 v[19:20], v[28:29], v[38:39]
	v_fma_f64 v[25:26], v[68:69], s[6:7], v[49:50]
	v_add_f64 v[21:22], v[30:31], v[40:41]
	v_fma_f64 v[27:28], v[55:56], s[6:7], v[34:35]
	v_fma_f64 v[31:32], v[66:67], s[6:7], v[36:37]
	;; [unrolled: 1-line block ×8, first 2 shown]
	v_sub_nc_u16 v14, v60, v14
	v_fma_f64 v[49:50], v[78:79], s[6:7], v[74:75]
	v_fma_f64 v[51:52], v[86:87], s[6:7], v[82:83]
	;; [unrolled: 1-line block ×6, first 2 shown]
	v_mul_u32_u24_sdwa v8, v8, v59 dst_sel:DWORD dst_unused:UNUSED_PAD src0_sel:WORD_0 src1_sel:DWORD
	v_lshlrev_b32_sdwa v9, v12, v9 dst_sel:DWORD dst_unused:UNUSED_PAD src0_sel:DWORD src1_sel:BYTE_0
	v_mul_u32_u24_sdwa v47, v14, v61 dst_sel:DWORD dst_unused:UNUSED_PAD src0_sel:BYTE_0 src1_sel:DWORD
	v_lshlrev_b32_sdwa v11, v12, v11 dst_sel:DWORD dst_unused:UNUSED_PAD src0_sel:DWORD src1_sel:WORD_0
	v_lshlrev_b32_sdwa v12, v12, v14 dst_sel:DWORD dst_unused:UNUSED_PAD src0_sel:DWORD src1_sel:BYTE_0
	v_add3_u32 v8, 0, v8, v9
	v_lshlrev_b32_e32 v47, 4, v47
	v_add3_u32 v9, 0, v10, v11
	ds_write_b128 v8, v[15:18]
	ds_write_b128 v8, v[23:26] offset:208
	ds_write_b128 v8, v[31:34] offset:416
	;; [unrolled: 1-line block ×4, first 2 shown]
	ds_write_b128 v9, v[19:22]
	ds_write_b128 v9, v[39:42] offset:208
	ds_write_b128 v9, v[49:52] offset:416
	;; [unrolled: 1-line block ×4, first 2 shown]
	s_waitcnt lgkmcnt(0)
	s_barrier
	buffer_gl0_inv
	s_clause 0x8
	global_load_dwordx4 v[8:11], v47, s[8:9] offset:864
	global_load_dwordx4 v[15:18], v47, s[8:9] offset:896
	;; [unrolled: 1-line block ×9, first 2 shown]
	ds_read_b128 v[49:52], v160 offset:9360
	ds_read_b128 v[53:56], v160 offset:15600
	ds_read_b128 v[64:67], v160 offset:21840
	ds_read_b128 v[68:71], v160 offset:28080
	ds_read_b128 v[72:75], v160 offset:3120
	ds_read_b128 v[76:79], v160 offset:6240
	ds_read_b128 v[80:83], v160 offset:12480
	ds_read_b128 v[84:87], v160 offset:18720
	ds_read_b128 v[88:91], v160 offset:24960
	v_mov_b32_e32 v47, 0x28a0
	v_mul_u32_u24_sdwa v13, v13, v47 dst_sel:DWORD dst_unused:UNUSED_PAD src0_sel:WORD_0 src1_sel:DWORD
	v_add3_u32 v12, 0, v13, v12
	s_waitcnt vmcnt(8) lgkmcnt(8)
	v_mul_f64 v[57:58], v[51:52], v[10:11]
	s_waitcnt vmcnt(7) lgkmcnt(7)
	v_mul_f64 v[92:93], v[55:56], v[17:18]
	v_mul_f64 v[17:18], v[53:54], v[17:18]
	s_waitcnt vmcnt(6) lgkmcnt(6)
	v_mul_f64 v[94:95], v[64:65], v[21:22]
	s_waitcnt vmcnt(5) lgkmcnt(5)
	v_mul_f64 v[96:97], v[68:69], v[25:26]
	v_mul_f64 v[25:26], v[70:71], v[25:26]
	v_mul_f64 v[21:22], v[66:67], v[21:22]
	v_mul_f64 v[10:11], v[49:50], v[10:11]
	s_waitcnt vmcnt(4) lgkmcnt(4)
	v_mul_f64 v[98:99], v[74:75], v[29:30]
	v_mul_f64 v[29:30], v[72:73], v[29:30]
	s_waitcnt vmcnt(3) lgkmcnt(3)
	v_mul_f64 v[100:101], v[78:79], v[33:34]
	v_mul_f64 v[33:34], v[76:77], v[33:34]
	;; [unrolled: 3-line block ×4, first 2 shown]
	s_waitcnt vmcnt(0) lgkmcnt(0)
	v_mul_f64 v[106:107], v[88:89], v[45:46]
	v_fma_f64 v[49:50], v[49:50], v[8:9], -v[57:58]
	v_fma_f64 v[53:54], v[53:54], v[15:16], -v[92:93]
	v_fma_f64 v[15:16], v[55:56], v[15:16], v[17:18]
	v_fma_f64 v[17:18], v[66:67], v[19:20], v[94:95]
	;; [unrolled: 1-line block ×3, first 2 shown]
	v_fma_f64 v[23:24], v[68:69], v[23:24], -v[25:26]
	v_fma_f64 v[19:20], v[64:65], v[19:20], -v[21:22]
	v_fma_f64 v[51:52], v[51:52], v[8:9], v[10:11]
	v_mul_f64 v[21:22], v[90:91], v[45:46]
	ds_read_b128 v[8:11], v160
	v_fma_f64 v[25:26], v[76:77], v[31:32], -v[100:101]
	v_fma_f64 v[31:32], v[78:79], v[31:32], v[33:34]
	v_fma_f64 v[33:34], v[80:81], v[35:36], -v[102:103]
	v_fma_f64 v[35:36], v[82:83], v[35:36], v[37:38]
	;; [unrolled: 2-line block ×4, first 2 shown]
	v_fma_f64 v[45:46], v[90:91], v[43:44], v[106:107]
	s_waitcnt lgkmcnt(0)
	s_barrier
	buffer_gl0_inv
	v_add_f64 v[100:101], v[49:50], -v[53:54]
	v_add_f64 v[104:105], v[53:54], -v[49:50]
	v_add_f64 v[29:30], v[15:16], v[17:18]
	v_add_f64 v[76:77], v[15:16], -v[17:18]
	v_add_f64 v[64:65], v[49:50], v[23:24]
	v_add_f64 v[66:67], v[53:54], v[19:20]
	;; [unrolled: 1-line block ×3, first 2 shown]
	v_fma_f64 v[21:22], v[88:89], v[43:44], -v[21:22]
	v_add_f64 v[74:75], v[51:52], -v[55:56]
	v_add_f64 v[78:79], v[49:50], -v[23:24]
	;; [unrolled: 1-line block ×5, first 2 shown]
	v_add_f64 v[68:69], v[33:34], v[37:38]
	v_add_f64 v[94:95], v[35:36], v[39:40]
	v_add_f64 v[108:109], v[51:52], -v[15:16]
	v_add_f64 v[110:111], v[55:56], -v[17:18]
	v_add_f64 v[98:99], v[31:32], v[45:46]
	v_add_f64 v[112:113], v[15:16], -v[51:52]
	v_add_f64 v[114:115], v[17:18], -v[55:56]
	v_add_f64 v[43:44], v[8:9], v[25:26]
	v_add_f64 v[92:93], v[10:11], v[31:32]
	v_add_f64 v[70:71], v[31:32], -v[45:46]
	v_add_f64 v[72:73], v[35:36], -v[39:40]
	v_fma_f64 v[29:30], v[29:30], -0.5, v[27:28]
	v_add_f64 v[82:83], v[25:26], -v[33:34]
	v_fma_f64 v[64:65], v[64:65], -0.5, v[41:42]
	v_fma_f64 v[66:67], v[66:67], -0.5, v[41:42]
	;; [unrolled: 1-line block ×3, first 2 shown]
	v_add_f64 v[86:87], v[25:26], v[21:22]
	v_add_f64 v[41:42], v[41:42], v[49:50]
	;; [unrolled: 1-line block ×3, first 2 shown]
	v_add_f64 v[84:85], v[21:22], -v[37:38]
	v_add_f64 v[88:89], v[33:34], -v[25:26]
	v_add_f64 v[25:26], v[25:26], -v[21:22]
	v_add_f64 v[96:97], v[33:34], -v[37:38]
	v_fma_f64 v[49:50], v[68:69], -0.5, v[8:9]
	v_fma_f64 v[51:52], v[94:95], -0.5, v[10:11]
	v_add_f64 v[68:69], v[100:101], v[102:103]
	v_fma_f64 v[10:11], v[98:99], -0.5, v[10:11]
	v_add_f64 v[94:95], v[108:109], v[110:111]
	v_add_f64 v[98:99], v[112:113], v[114:115]
	v_add_f64 v[90:91], v[37:38], -v[21:22]
	v_add_f64 v[124:125], v[31:32], -v[35:36]
	;; [unrolled: 1-line block ×3, first 2 shown]
	v_add_f64 v[33:34], v[43:44], v[33:34]
	v_fma_f64 v[116:117], v[78:79], s[10:11], v[29:30]
	v_fma_f64 v[29:30], v[78:79], s[0:1], v[29:30]
	v_fma_f64 v[120:121], v[76:77], s[0:1], v[64:65]
	v_fma_f64 v[122:123], v[74:75], s[10:11], v[66:67]
	v_fma_f64 v[66:67], v[74:75], s[0:1], v[66:67]
	v_fma_f64 v[118:119], v[80:81], s[0:1], v[57:58]
	v_fma_f64 v[64:65], v[76:77], s[10:11], v[64:65]
	v_fma_f64 v[57:58], v[80:81], s[10:11], v[57:58]
	v_fma_f64 v[8:9], v[86:87], -0.5, v[8:9]
	v_add_f64 v[86:87], v[104:105], v[106:107]
	v_add_f64 v[35:36], v[92:93], v[35:36]
	;; [unrolled: 1-line block ×4, first 2 shown]
	v_add_f64 v[126:127], v[45:46], -v[39:40]
	v_add_f64 v[128:129], v[39:40], -v[45:46]
	v_add_f64 v[43:44], v[82:83], v[84:85]
	v_fma_f64 v[27:28], v[70:71], s[0:1], v[49:50]
	v_fma_f64 v[49:50], v[70:71], s[10:11], v[49:50]
	v_add_f64 v[33:34], v[33:34], v[37:38]
	v_fma_f64 v[100:101], v[80:81], s[12:13], v[116:117]
	v_fma_f64 v[29:30], v[80:81], s[4:5], v[29:30]
	;; [unrolled: 1-line block ×14, first 2 shown]
	v_add_f64 v[74:75], v[88:89], v[90:91]
	v_add_f64 v[35:36], v[35:36], v[39:40]
	v_add_f64 v[19:20], v[41:42], v[19:20]
	v_add_f64 v[15:16], v[15:16], v[17:18]
	v_add_f64 v[31:32], v[31:32], v[128:129]
	v_fma_f64 v[17:18], v[72:73], s[4:5], v[27:28]
	v_fma_f64 v[27:28], v[72:73], s[12:13], v[49:50]
	v_add_f64 v[21:22], v[33:34], v[21:22]
	v_fma_f64 v[80:81], v[94:95], s[6:7], v[100:101]
	v_fma_f64 v[29:30], v[94:95], s[6:7], v[29:30]
	;; [unrolled: 1-line block ×8, first 2 shown]
	v_add_f64 v[68:69], v[124:125], v[126:127]
	v_fma_f64 v[37:38], v[70:71], s[4:5], v[53:54]
	v_fma_f64 v[8:9], v[70:71], s[12:13], v[8:9]
	;; [unrolled: 1-line block ×6, first 2 shown]
	v_add_f64 v[33:34], v[35:36], v[45:46]
	v_add_f64 v[19:20], v[19:20], v[23:24]
	;; [unrolled: 1-line block ×3, first 2 shown]
	v_fma_f64 v[45:46], v[43:44], s[6:7], v[17:18]
	v_fma_f64 v[55:56], v[43:44], s[6:7], v[27:28]
	v_mul_f64 v[25:26], v[80:81], s[4:5]
	v_mul_f64 v[86:87], v[29:30], s[14:15]
	;; [unrolled: 1-line block ×8, first 2 shown]
	v_fma_f64 v[43:44], v[74:75], s[6:7], v[37:38]
	v_fma_f64 v[8:9], v[74:75], s[6:7], v[8:9]
	v_fma_f64 v[74:75], v[68:69], s[6:7], v[39:40]
	v_fma_f64 v[90:91], v[31:32], s[6:7], v[49:50]
	v_fma_f64 v[10:11], v[31:32], s[6:7], v[10:11]
	v_fma_f64 v[68:69], v[68:69], s[6:7], v[41:42]
	v_add_f64 v[15:16], v[21:22], v[19:20]
	v_add_f64 v[17:18], v[33:34], v[23:24]
	v_add_f64 v[19:20], v[21:22], -v[19:20]
	v_add_f64 v[21:22], v[33:34], -v[23:24]
	v_fma_f64 v[39:40], v[66:67], s[14:15], v[25:26]
	v_fma_f64 v[66:67], v[88:89], s[12:13], -v[86:87]
	v_fma_f64 v[49:50], v[57:58], s[0:1], -v[53:54]
	v_cmp_gt_u32_e64 s0, 0x41, v60
	v_fma_f64 v[53:54], v[80:81], s[14:15], v[72:73]
	v_fma_f64 v[41:42], v[64:65], s[6:7], v[51:52]
	;; [unrolled: 1-line block ×3, first 2 shown]
	v_fma_f64 v[64:65], v[84:85], s[10:11], -v[78:79]
	v_fma_f64 v[51:52], v[29:30], s[4:5], -v[70:71]
	v_add_f64 v[23:24], v[45:46], v[39:40]
	v_add_f64 v[37:38], v[68:69], v[66:67]
	;; [unrolled: 1-line block ×3, first 2 shown]
	v_add_f64 v[39:40], v[45:46], -v[39:40]
	v_add_f64 v[25:26], v[74:75], v[53:54]
	v_add_f64 v[27:28], v[43:44], v[41:42]
	;; [unrolled: 1-line block ×5, first 2 shown]
	v_add_f64 v[43:44], v[43:44], -v[41:42]
	v_add_f64 v[41:42], v[74:75], -v[53:54]
	;; [unrolled: 1-line block ×7, first 2 shown]
	ds_write_b128 v12, v[15:18]
	ds_write_b128 v12, v[19:22] offset:5200
	ds_write_b128 v12, v[23:26] offset:1040
	;; [unrolled: 1-line block ×9, first 2 shown]
	s_waitcnt lgkmcnt(0)
	s_barrier
	buffer_gl0_inv
	ds_read_b128 v[20:23], v160
	ds_read_b128 v[12:15], v160 offset:3120
	ds_read_b128 v[36:39], v160 offset:20800
	;; [unrolled: 1-line block ×8, first 2 shown]
	s_and_saveexec_b32 s1, s0
	s_cbranch_execz .LBB0_15
; %bb.14:
	ds_read_b128 v[8:11], v160 offset:9360
	ds_read_b128 v[0:3], v160 offset:19760
	;; [unrolled: 1-line block ×3, first 2 shown]
.LBB0_15:
	s_or_b32 exec_lo, exec_lo, s1
	v_lshlrev_b32_e32 v51, 1, v60
	v_mov_b32_e32 v52, 0
	v_add_nc_u32_e32 v50, 0x186, v60
	s_mov_b32 s4, 0xe8584caa
	s_mov_b32 s5, 0x3febb67a
	;; [unrolled: 1-line block ×3, first 2 shown]
	v_lshlrev_b64 v[53:54], 4, v[51:52]
	v_lshlrev_b32_e32 v51, 1, v48
	s_mov_b32 s6, s4
	v_lshlrev_b64 v[68:69], 4, v[51:52]
	v_add_co_u32 v49, s1, s8, v53
	v_add_co_ci_u32_e64 v55, s1, s9, v54, s1
	v_lshlrev_b32_e32 v51, 1, v50
	v_add_co_u32 v53, s1, 0x2000, v49
	v_add_co_ci_u32_e64 v54, s1, 0, v55, s1
	v_add_co_u32 v57, s1, 0x27d0, v49
	v_add_co_ci_u32_e64 v58, s1, 0, v55, s1
	v_add_co_u32 v49, s1, s8, v68
	s_clause 0x1
	global_load_dwordx4 v[53:56], v[53:54], off offset:2000
	global_load_dwordx4 v[64:67], v[57:58], off offset:16
	v_add_co_ci_u32_e64 v59, s1, s9, v69, s1
	v_lshlrev_b64 v[57:58], 4, v[51:52]
	v_add_co_u32 v72, s1, 0x27d0, v49
	v_add_co_ci_u32_e64 v73, s1, 0, v59, s1
	v_add_co_u32 v51, s1, s8, v57
	v_add_co_ci_u32_e64 v61, s1, s9, v58, s1
	;; [unrolled: 2-line block ×5, first 2 shown]
	s_clause 0x3
	global_load_dwordx4 v[68:71], v[57:58], off offset:2000
	global_load_dwordx4 v[72:75], v[72:73], off offset:16
	;; [unrolled: 1-line block ×4, first 2 shown]
	s_waitcnt vmcnt(0) lgkmcnt(0)
	s_barrier
	buffer_gl0_inv
	v_mul_f64 v[57:58], v[46:47], v[55:56]
	v_mul_f64 v[84:85], v[38:39], v[66:67]
	;; [unrolled: 1-line block ×4, first 2 shown]
	v_fma_f64 v[44:45], v[44:45], v[53:54], -v[57:58]
	v_fma_f64 v[36:37], v[36:37], v[64:65], -v[84:85]
	v_mul_f64 v[86:87], v[42:43], v[70:71]
	v_mul_f64 v[88:89], v[26:27], v[74:75]
	v_mul_f64 v[70:71], v[40:41], v[70:71]
	v_mul_f64 v[74:75], v[24:25], v[74:75]
	v_mul_f64 v[90:91], v[30:31], v[78:79]
	v_mul_f64 v[92:93], v[34:35], v[82:83]
	v_mul_f64 v[78:79], v[28:29], v[78:79]
	v_mul_f64 v[82:83], v[32:33], v[82:83]
	v_fma_f64 v[46:47], v[46:47], v[53:54], v[55:56]
	v_fma_f64 v[38:39], v[38:39], v[64:65], v[66:67]
	v_add_f64 v[53:54], v[44:45], v[36:37]
	v_fma_f64 v[40:41], v[40:41], v[68:69], -v[86:87]
	v_fma_f64 v[24:25], v[24:25], v[72:73], -v[88:89]
	v_fma_f64 v[42:43], v[42:43], v[68:69], v[70:71]
	v_fma_f64 v[26:27], v[26:27], v[72:73], v[74:75]
	v_fma_f64 v[28:29], v[28:29], v[76:77], -v[90:91]
	v_fma_f64 v[32:33], v[32:33], v[80:81], -v[92:93]
	v_fma_f64 v[30:31], v[30:31], v[76:77], v[78:79]
	v_fma_f64 v[34:35], v[34:35], v[80:81], v[82:83]
	v_add_f64 v[70:71], v[20:21], v[44:45]
	v_add_f64 v[55:56], v[46:47], v[38:39]
	v_add_f64 v[72:73], v[46:47], -v[38:39]
	v_add_f64 v[46:47], v[22:23], v[46:47]
	v_add_f64 v[44:45], v[44:45], -v[36:37]
	v_fma_f64 v[53:54], v[53:54], -0.5, v[20:21]
	v_add_f64 v[74:75], v[12:13], v[40:41]
	v_add_f64 v[57:58], v[40:41], v[24:25]
	;; [unrolled: 1-line block ×8, first 2 shown]
	v_add_f64 v[42:43], v[42:43], -v[26:27]
	v_fma_f64 v[55:56], v[55:56], -0.5, v[22:23]
	v_add_f64 v[40:41], v[40:41], -v[24:25]
	v_add_f64 v[82:83], v[30:31], -v[34:35]
	v_add_f64 v[84:85], v[28:29], -v[32:33]
	v_fma_f64 v[29:30], v[72:73], s[6:7], v[53:54]
	v_fma_f64 v[57:58], v[57:58], -0.5, v[12:13]
	v_add_nc_u32_e32 v12, 0x249, v60
	v_fma_f64 v[64:65], v[64:65], -0.5, v[14:15]
	v_add_f64 v[13:14], v[70:71], v[36:37]
	v_fma_f64 v[66:67], v[66:67], -0.5, v[16:17]
	v_add_f64 v[15:16], v[46:47], v[38:39]
	;; [unrolled: 2-line block ×3, first 2 shown]
	v_add_f64 v[19:20], v[76:77], v[26:27]
	v_add_f64 v[21:22], v[78:79], v[32:33]
	;; [unrolled: 1-line block ×3, first 2 shown]
	v_fma_f64 v[25:26], v[72:73], s[4:5], v[53:54]
	v_fma_f64 v[27:28], v[44:45], s[6:7], v[55:56]
	v_fma_f64 v[31:32], v[44:45], s[4:5], v[55:56]
	v_fma_f64 v[33:34], v[42:43], s[4:5], v[57:58]
	v_fma_f64 v[37:38], v[42:43], s[6:7], v[57:58]
	v_fma_f64 v[35:36], v[40:41], s[6:7], v[64:65]
	v_fma_f64 v[39:40], v[40:41], s[4:5], v[64:65]
	v_fma_f64 v[41:42], v[82:83], s[4:5], v[66:67]
	v_fma_f64 v[53:54], v[82:83], s[6:7], v[66:67]
	v_fma_f64 v[43:44], v[84:85], s[6:7], v[68:69]
	v_fma_f64 v[55:56], v[84:85], s[4:5], v[68:69]
	ds_write_b128 v160, v[13:16]
	ds_write_b128 v160, v[17:20] offset:3120
	ds_write_b128 v160, v[21:24] offset:6240
	;; [unrolled: 1-line block ×8, first 2 shown]
	s_and_saveexec_b32 s1, s0
	s_cbranch_execz .LBB0_17
; %bb.16:
	v_add_nc_u32_e32 v13, 0xffffffbf, v60
	v_cndmask_b32_e64 v13, v13, v12, s0
	v_lshlrev_b32_e32 v51, 1, v13
	v_lshlrev_b64 v[13:14], 4, v[51:52]
	v_add_co_u32 v15, s0, s8, v13
	v_add_co_ci_u32_e64 v16, s0, s9, v14, s0
	v_add_co_u32 v13, s0, 0x2000, v15
	v_add_co_ci_u32_e64 v14, s0, 0, v16, s0
	;; [unrolled: 2-line block ×3, first 2 shown]
	s_clause 0x1
	global_load_dwordx4 v[13:16], v[13:14], off offset:2000
	global_load_dwordx4 v[17:20], v[17:18], off offset:16
	s_waitcnt vmcnt(1)
	v_mul_f64 v[21:22], v[0:1], v[15:16]
	s_waitcnt vmcnt(0)
	v_mul_f64 v[23:24], v[4:5], v[19:20]
	v_mul_f64 v[15:16], v[2:3], v[15:16]
	;; [unrolled: 1-line block ×3, first 2 shown]
	v_fma_f64 v[2:3], v[2:3], v[13:14], v[21:22]
	v_fma_f64 v[6:7], v[6:7], v[17:18], v[23:24]
	v_fma_f64 v[0:1], v[0:1], v[13:14], -v[15:16]
	v_fma_f64 v[4:5], v[4:5], v[17:18], -v[19:20]
	v_add_f64 v[19:20], v[10:11], v[2:3]
	v_add_f64 v[13:14], v[2:3], v[6:7]
	;; [unrolled: 1-line block ×3, first 2 shown]
	v_add_f64 v[17:18], v[0:1], -v[4:5]
	v_add_f64 v[0:1], v[8:9], v[0:1]
	v_fma_f64 v[10:11], v[13:14], -0.5, v[10:11]
	v_add_f64 v[13:14], v[2:3], -v[6:7]
	v_fma_f64 v[15:16], v[15:16], -0.5, v[8:9]
	v_add_f64 v[2:3], v[19:20], v[6:7]
	v_add_f64 v[0:1], v[0:1], v[4:5]
	v_fma_f64 v[6:7], v[17:18], s[4:5], v[10:11]
	v_fma_f64 v[10:11], v[17:18], s[6:7], v[10:11]
	;; [unrolled: 1-line block ×4, first 2 shown]
	ds_write_b128 v160, v[0:3] offset:9360
	ds_write_b128 v160, v[8:11] offset:19760
	;; [unrolled: 1-line block ×3, first 2 shown]
.LBB0_17:
	s_or_b32 exec_lo, exec_lo, s1
	s_waitcnt lgkmcnt(0)
	s_barrier
	buffer_gl0_inv
	ds_read_b128 v[4:7], v160
	v_lshlrev_b32_e32 v0, 4, v60
	s_add_u32 s1, s8, 0x7910
	s_addc_u32 s4, s9, 0
	s_mov_b32 s5, exec_lo
                                        ; implicit-def: $vgpr8_vgpr9
                                        ; implicit-def: $vgpr10_vgpr11
	v_sub_nc_u32_e32 v14, 0, v0
                                        ; implicit-def: $vgpr0_vgpr1
	v_cmpx_ne_u32_e32 0, v60
	s_xor_b32 s5, exec_lo, s5
	s_cbranch_execz .LBB0_19
; %bb.18:
	v_mov_b32_e32 v61, 0
	v_lshlrev_b64 v[0:1], 4, v[60:61]
	v_add_co_u32 v0, s0, s1, v0
	v_add_co_ci_u32_e64 v1, s0, s4, v1, s0
	global_load_dwordx4 v[15:18], v[0:1], off
	ds_read_b128 v[0:3], v14 offset:31200
	s_waitcnt lgkmcnt(0)
	v_add_f64 v[8:9], v[4:5], -v[0:1]
	v_add_f64 v[10:11], v[6:7], v[2:3]
	v_add_f64 v[2:3], v[6:7], -v[2:3]
	v_add_f64 v[0:1], v[4:5], v[0:1]
	v_mul_f64 v[6:7], v[8:9], 0.5
	v_mul_f64 v[4:5], v[10:11], 0.5
	;; [unrolled: 1-line block ×3, first 2 shown]
	s_waitcnt vmcnt(0)
	v_mul_f64 v[8:9], v[6:7], v[17:18]
	v_fma_f64 v[10:11], v[4:5], v[17:18], v[2:3]
	v_fma_f64 v[2:3], v[4:5], v[17:18], -v[2:3]
	v_fma_f64 v[19:20], v[0:1], 0.5, v[8:9]
	v_fma_f64 v[0:1], v[0:1], 0.5, -v[8:9]
	v_fma_f64 v[10:11], -v[15:16], v[6:7], v[10:11]
	v_fma_f64 v[2:3], -v[15:16], v[6:7], v[2:3]
	v_fma_f64 v[8:9], v[4:5], v[15:16], v[19:20]
	v_fma_f64 v[0:1], -v[4:5], v[15:16], v[0:1]
                                        ; implicit-def: $vgpr4_vgpr5
.LBB0_19:
	s_andn2_saveexec_b32 s0, s5
	s_cbranch_execz .LBB0_21
; %bb.20:
	v_mov_b32_e32 v13, 0
	s_waitcnt lgkmcnt(0)
	v_add_f64 v[8:9], v[4:5], v[6:7]
	v_add_f64 v[0:1], v[4:5], -v[6:7]
	v_mov_b32_e32 v10, 0
	v_mov_b32_e32 v11, 0
	ds_read_b64 v[15:16], v13 offset:15608
	v_mov_b32_e32 v2, v10
	v_mov_b32_e32 v3, v11
	s_waitcnt lgkmcnt(0)
	v_xor_b32_e32 v16, 0x80000000, v16
	ds_write_b64 v13, v[15:16] offset:15608
.LBB0_21:
	s_or_b32 exec_lo, exec_lo, s0
	v_mov_b32_e32 v49, 0
	ds_write2_b64 v160, v[8:9], v[10:11] offset1:1
	ds_write_b128 v14, v[0:3] offset:31200
	s_waitcnt lgkmcnt(2)
	v_lshlrev_b64 v[4:5], 4, v[48:49]
	v_mov_b32_e32 v51, v49
	v_mov_b32_e32 v13, v49
	v_add_nc_u32_e32 v48, 0x30c, v60
	v_lshlrev_b64 v[15:16], 4, v[50:51]
	v_add_co_u32 v4, s0, s1, v4
	v_add_co_ci_u32_e64 v5, s0, s4, v5, s0
	v_lshlrev_b64 v[12:13], 4, v[12:13]
	v_add_co_u32 v15, s0, s1, v15
	global_load_dwordx4 v[4:7], v[4:5], off
	v_add_co_ci_u32_e64 v16, s0, s4, v16, s0
	v_add_co_u32 v12, s0, s1, v12
	v_add_co_ci_u32_e64 v13, s0, s4, v13, s0
	global_load_dwordx4 v[15:18], v[15:16], off
	ds_read_b128 v[0:3], v160 offset:3120
	ds_read_b128 v[8:11], v14 offset:28080
	global_load_dwordx4 v[19:22], v[12:13], off
	s_waitcnt lgkmcnt(0)
	v_add_f64 v[12:13], v[0:1], -v[8:9]
	v_add_f64 v[23:24], v[2:3], v[10:11]
	v_add_f64 v[2:3], v[2:3], -v[10:11]
	v_add_f64 v[0:1], v[0:1], v[8:9]
	v_mul_f64 v[10:11], v[12:13], 0.5
	v_mul_f64 v[12:13], v[23:24], 0.5
	;; [unrolled: 1-line block ×3, first 2 shown]
	s_waitcnt vmcnt(2)
	v_mul_f64 v[8:9], v[10:11], v[6:7]
	v_fma_f64 v[23:24], v[12:13], v[6:7], v[2:3]
	v_fma_f64 v[2:3], v[12:13], v[6:7], -v[2:3]
	v_fma_f64 v[6:7], v[0:1], 0.5, v[8:9]
	v_fma_f64 v[0:1], v[0:1], 0.5, -v[8:9]
	v_fma_f64 v[8:9], -v[4:5], v[10:11], v[23:24]
	v_fma_f64 v[2:3], -v[4:5], v[10:11], v[2:3]
	v_lshlrev_b64 v[10:11], 4, v[48:49]
	v_fma_f64 v[6:7], v[12:13], v[4:5], v[6:7]
	v_fma_f64 v[0:1], -v[12:13], v[4:5], v[0:1]
	v_add_nc_u32_e32 v4, 0x800, v160
	ds_write2_b64 v4, v[6:7], v[8:9] offset0:134 offset1:135
	ds_write_b128 v14, v[0:3] offset:28080
	v_add_co_u32 v8, s0, s1, v10
	ds_read_b128 v[0:3], v160 offset:6240
	ds_read_b128 v[4:7], v14 offset:24960
	v_add_co_ci_u32_e64 v9, s0, s4, v11, s0
	global_load_dwordx4 v[8:11], v[8:9], off
	s_waitcnt lgkmcnt(0)
	v_add_f64 v[12:13], v[0:1], -v[4:5]
	v_add_f64 v[23:24], v[2:3], v[6:7]
	v_add_f64 v[2:3], v[2:3], -v[6:7]
	v_add_f64 v[0:1], v[0:1], v[4:5]
	v_mul_f64 v[6:7], v[12:13], 0.5
	v_mul_f64 v[12:13], v[23:24], 0.5
	;; [unrolled: 1-line block ×3, first 2 shown]
	s_waitcnt vmcnt(2)
	v_mul_f64 v[4:5], v[6:7], v[17:18]
	v_fma_f64 v[23:24], v[12:13], v[17:18], v[2:3]
	v_fma_f64 v[2:3], v[12:13], v[17:18], -v[2:3]
	v_fma_f64 v[17:18], v[0:1], 0.5, v[4:5]
	v_fma_f64 v[0:1], v[0:1], 0.5, -v[4:5]
	v_fma_f64 v[4:5], -v[15:16], v[6:7], v[23:24]
	v_fma_f64 v[2:3], -v[15:16], v[6:7], v[2:3]
	v_fma_f64 v[6:7], v[12:13], v[15:16], v[17:18]
	v_fma_f64 v[0:1], -v[12:13], v[15:16], v[0:1]
	v_add_nc_u32_e32 v12, 0x1800, v160
	ds_write2_b64 v12, v[6:7], v[4:5] offset0:12 offset1:13
	ds_write_b128 v14, v[0:3] offset:24960
	ds_read_b128 v[0:3], v160 offset:9360
	ds_read_b128 v[4:7], v14 offset:21840
	s_waitcnt lgkmcnt(0)
	v_add_f64 v[12:13], v[0:1], -v[4:5]
	v_add_f64 v[15:16], v[2:3], v[6:7]
	v_add_f64 v[2:3], v[2:3], -v[6:7]
	v_add_f64 v[0:1], v[0:1], v[4:5]
	v_mul_f64 v[6:7], v[12:13], 0.5
	v_mul_f64 v[12:13], v[15:16], 0.5
	;; [unrolled: 1-line block ×3, first 2 shown]
	s_waitcnt vmcnt(1)
	v_mul_f64 v[4:5], v[6:7], v[21:22]
	v_fma_f64 v[15:16], v[12:13], v[21:22], v[2:3]
	v_fma_f64 v[2:3], v[12:13], v[21:22], -v[2:3]
	v_fma_f64 v[17:18], v[0:1], 0.5, v[4:5]
	v_fma_f64 v[0:1], v[0:1], 0.5, -v[4:5]
	v_fma_f64 v[4:5], -v[19:20], v[6:7], v[15:16]
	v_fma_f64 v[2:3], -v[19:20], v[6:7], v[2:3]
	v_fma_f64 v[6:7], v[12:13], v[19:20], v[17:18]
	v_fma_f64 v[0:1], -v[12:13], v[19:20], v[0:1]
	v_add_nc_u32_e32 v12, 0x2000, v160
	ds_write2_b64 v12, v[6:7], v[4:5] offset0:146 offset1:147
	ds_write_b128 v14, v[0:3] offset:21840
	ds_read_b128 v[0:3], v160 offset:12480
	ds_read_b128 v[4:7], v14 offset:18720
	s_waitcnt lgkmcnt(0)
	v_add_f64 v[12:13], v[0:1], -v[4:5]
	v_add_f64 v[15:16], v[2:3], v[6:7]
	v_add_f64 v[2:3], v[2:3], -v[6:7]
	v_add_f64 v[0:1], v[0:1], v[4:5]
	v_mul_f64 v[6:7], v[12:13], 0.5
	v_mul_f64 v[12:13], v[15:16], 0.5
	;; [unrolled: 1-line block ×3, first 2 shown]
	s_waitcnt vmcnt(0)
	v_mul_f64 v[4:5], v[6:7], v[10:11]
	v_fma_f64 v[15:16], v[12:13], v[10:11], v[2:3]
	v_fma_f64 v[2:3], v[12:13], v[10:11], -v[2:3]
	v_fma_f64 v[10:11], v[0:1], 0.5, v[4:5]
	v_fma_f64 v[0:1], v[0:1], 0.5, -v[4:5]
	v_fma_f64 v[4:5], -v[8:9], v[6:7], v[15:16]
	v_fma_f64 v[2:3], -v[8:9], v[6:7], v[2:3]
	v_fma_f64 v[6:7], v[12:13], v[8:9], v[10:11]
	v_fma_f64 v[0:1], -v[12:13], v[8:9], v[0:1]
	v_add_nc_u32_e32 v8, 0x3000, v160
	ds_write2_b64 v8, v[6:7], v[4:5] offset0:24 offset1:25
	ds_write_b128 v14, v[0:3] offset:18720
	s_waitcnt lgkmcnt(0)
	s_barrier
	buffer_gl0_inv
	s_and_saveexec_b32 s0, vcc_lo
	s_cbranch_execz .LBB0_24
; %bb.22:
	v_mov_b32_e32 v61, v49
	ds_read_b128 v[2:5], v160
	v_add_co_u32 v0, vcc_lo, s2, v62
	v_add_co_ci_u32_e32 v1, vcc_lo, s3, v63, vcc_lo
	v_lshlrev_b64 v[18:19], 4, v[60:61]
	ds_read_b128 v[6:9], v160 offset:3120
	ds_read_b128 v[10:13], v160 offset:6240
	;; [unrolled: 1-line block ×3, first 2 shown]
	v_add_co_u32 v26, vcc_lo, v0, v18
	v_add_co_ci_u32_e32 v27, vcc_lo, v1, v19, vcc_lo
	ds_read_b128 v[18:21], v160 offset:12480
	ds_read_b128 v[22:25], v160 offset:15600
	v_add_co_u32 v28, vcc_lo, 0x800, v26
	v_add_co_ci_u32_e32 v29, vcc_lo, 0, v27, vcc_lo
	s_waitcnt lgkmcnt(5)
	global_store_dwordx4 v[26:27], v[2:5], off
	v_add_co_u32 v2, vcc_lo, 0x1800, v26
	v_add_co_ci_u32_e32 v3, vcc_lo, 0, v27, vcc_lo
	v_add_co_u32 v4, vcc_lo, 0x2000, v26
	v_add_co_ci_u32_e32 v5, vcc_lo, 0, v27, vcc_lo
	v_add_co_u32 v30, vcc_lo, 0x3000, v26
	v_add_co_ci_u32_e32 v31, vcc_lo, 0, v27, vcc_lo
	v_add_co_u32 v32, vcc_lo, 0x3800, v26
	v_add_co_ci_u32_e32 v33, vcc_lo, 0, v27, vcc_lo
	s_waitcnt lgkmcnt(4)
	global_store_dwordx4 v[28:29], v[6:9], off offset:1072
	s_waitcnt lgkmcnt(3)
	global_store_dwordx4 v[2:3], v[10:13], off offset:96
	;; [unrolled: 2-line block ×5, first 2 shown]
	ds_read_b128 v[2:5], v160 offset:18720
	ds_read_b128 v[6:9], v160 offset:21840
	;; [unrolled: 1-line block ×4, first 2 shown]
	v_add_co_u32 v18, vcc_lo, 0x4800, v26
	v_add_co_ci_u32_e32 v19, vcc_lo, 0, v27, vcc_lo
	v_add_co_u32 v20, vcc_lo, 0x5000, v26
	v_add_co_ci_u32_e32 v21, vcc_lo, 0, v27, vcc_lo
	;; [unrolled: 2-line block ×4, first 2 shown]
	v_cmp_eq_u32_e32 vcc_lo, 0xc2, v60
	s_waitcnt lgkmcnt(3)
	global_store_dwordx4 v[18:19], v[2:5], off offset:288
	s_waitcnt lgkmcnt(2)
	global_store_dwordx4 v[20:21], v[6:9], off offset:1360
	;; [unrolled: 2-line block ×4, first 2 shown]
	s_and_b32 exec_lo, exec_lo, vcc_lo
	s_cbranch_execz .LBB0_24
; %bb.23:
	v_mov_b32_e32 v2, 0
	v_add_co_u32 v0, vcc_lo, 0x7800, v0
	v_add_co_ci_u32_e32 v1, vcc_lo, 0, v1, vcc_lo
	ds_read_b128 v[2:5], v2 offset:31200
	s_waitcnt lgkmcnt(0)
	global_store_dwordx4 v[0:1], v[2:5], off offset:480
.LBB0_24:
	s_endpgm
	.section	.rodata,"a",@progbits
	.p2align	6, 0x0
	.amdhsa_kernel fft_rtc_fwd_len1950_factors_13_5_10_3_wgs_195_tpt_195_dp_ip_CI_unitstride_sbrr_R2C_dirReg
		.amdhsa_group_segment_fixed_size 0
		.amdhsa_private_segment_fixed_size 0
		.amdhsa_kernarg_size 88
		.amdhsa_user_sgpr_count 6
		.amdhsa_user_sgpr_private_segment_buffer 1
		.amdhsa_user_sgpr_dispatch_ptr 0
		.amdhsa_user_sgpr_queue_ptr 0
		.amdhsa_user_sgpr_kernarg_segment_ptr 1
		.amdhsa_user_sgpr_dispatch_id 0
		.amdhsa_user_sgpr_flat_scratch_init 0
		.amdhsa_user_sgpr_private_segment_size 0
		.amdhsa_wavefront_size32 1
		.amdhsa_uses_dynamic_stack 0
		.amdhsa_system_sgpr_private_segment_wavefront_offset 0
		.amdhsa_system_sgpr_workgroup_id_x 1
		.amdhsa_system_sgpr_workgroup_id_y 0
		.amdhsa_system_sgpr_workgroup_id_z 0
		.amdhsa_system_sgpr_workgroup_info 0
		.amdhsa_system_vgpr_workitem_id 0
		.amdhsa_next_free_vgpr 191
		.amdhsa_next_free_sgpr 42
		.amdhsa_reserve_vcc 1
		.amdhsa_reserve_flat_scratch 0
		.amdhsa_float_round_mode_32 0
		.amdhsa_float_round_mode_16_64 0
		.amdhsa_float_denorm_mode_32 3
		.amdhsa_float_denorm_mode_16_64 3
		.amdhsa_dx10_clamp 1
		.amdhsa_ieee_mode 1
		.amdhsa_fp16_overflow 0
		.amdhsa_workgroup_processor_mode 1
		.amdhsa_memory_ordered 1
		.amdhsa_forward_progress 0
		.amdhsa_shared_vgpr_count 0
		.amdhsa_exception_fp_ieee_invalid_op 0
		.amdhsa_exception_fp_denorm_src 0
		.amdhsa_exception_fp_ieee_div_zero 0
		.amdhsa_exception_fp_ieee_overflow 0
		.amdhsa_exception_fp_ieee_underflow 0
		.amdhsa_exception_fp_ieee_inexact 0
		.amdhsa_exception_int_div_zero 0
	.end_amdhsa_kernel
	.text
.Lfunc_end0:
	.size	fft_rtc_fwd_len1950_factors_13_5_10_3_wgs_195_tpt_195_dp_ip_CI_unitstride_sbrr_R2C_dirReg, .Lfunc_end0-fft_rtc_fwd_len1950_factors_13_5_10_3_wgs_195_tpt_195_dp_ip_CI_unitstride_sbrr_R2C_dirReg
                                        ; -- End function
	.section	.AMDGPU.csdata,"",@progbits
; Kernel info:
; codeLenInByte = 12180
; NumSgprs: 44
; NumVgprs: 191
; ScratchSize: 0
; MemoryBound: 0
; FloatMode: 240
; IeeeMode: 1
; LDSByteSize: 0 bytes/workgroup (compile time only)
; SGPRBlocks: 5
; VGPRBlocks: 23
; NumSGPRsForWavesPerEU: 44
; NumVGPRsForWavesPerEU: 191
; Occupancy: 5
; WaveLimiterHint : 1
; COMPUTE_PGM_RSRC2:SCRATCH_EN: 0
; COMPUTE_PGM_RSRC2:USER_SGPR: 6
; COMPUTE_PGM_RSRC2:TRAP_HANDLER: 0
; COMPUTE_PGM_RSRC2:TGID_X_EN: 1
; COMPUTE_PGM_RSRC2:TGID_Y_EN: 0
; COMPUTE_PGM_RSRC2:TGID_Z_EN: 0
; COMPUTE_PGM_RSRC2:TIDIG_COMP_CNT: 0
	.text
	.p2alignl 6, 3214868480
	.fill 48, 4, 3214868480
	.type	__hip_cuid_8bc89c2e55b7c3d4,@object ; @__hip_cuid_8bc89c2e55b7c3d4
	.section	.bss,"aw",@nobits
	.globl	__hip_cuid_8bc89c2e55b7c3d4
__hip_cuid_8bc89c2e55b7c3d4:
	.byte	0                               ; 0x0
	.size	__hip_cuid_8bc89c2e55b7c3d4, 1

	.ident	"AMD clang version 19.0.0git (https://github.com/RadeonOpenCompute/llvm-project roc-6.4.0 25133 c7fe45cf4b819c5991fe208aaa96edf142730f1d)"
	.section	".note.GNU-stack","",@progbits
	.addrsig
	.addrsig_sym __hip_cuid_8bc89c2e55b7c3d4
	.amdgpu_metadata
---
amdhsa.kernels:
  - .args:
      - .actual_access:  read_only
        .address_space:  global
        .offset:         0
        .size:           8
        .value_kind:     global_buffer
      - .offset:         8
        .size:           8
        .value_kind:     by_value
      - .actual_access:  read_only
        .address_space:  global
        .offset:         16
        .size:           8
        .value_kind:     global_buffer
      - .actual_access:  read_only
        .address_space:  global
        .offset:         24
        .size:           8
        .value_kind:     global_buffer
      - .offset:         32
        .size:           8
        .value_kind:     by_value
      - .actual_access:  read_only
        .address_space:  global
        .offset:         40
        .size:           8
        .value_kind:     global_buffer
      - .actual_access:  read_only
        .address_space:  global
        .offset:         48
        .size:           8
        .value_kind:     global_buffer
      - .offset:         56
        .size:           4
        .value_kind:     by_value
      - .actual_access:  read_only
        .address_space:  global
        .offset:         64
        .size:           8
        .value_kind:     global_buffer
      - .actual_access:  read_only
        .address_space:  global
        .offset:         72
        .size:           8
        .value_kind:     global_buffer
      - .address_space:  global
        .offset:         80
        .size:           8
        .value_kind:     global_buffer
    .group_segment_fixed_size: 0
    .kernarg_segment_align: 8
    .kernarg_segment_size: 88
    .language:       OpenCL C
    .language_version:
      - 2
      - 0
    .max_flat_workgroup_size: 195
    .name:           fft_rtc_fwd_len1950_factors_13_5_10_3_wgs_195_tpt_195_dp_ip_CI_unitstride_sbrr_R2C_dirReg
    .private_segment_fixed_size: 0
    .sgpr_count:     44
    .sgpr_spill_count: 0
    .symbol:         fft_rtc_fwd_len1950_factors_13_5_10_3_wgs_195_tpt_195_dp_ip_CI_unitstride_sbrr_R2C_dirReg.kd
    .uniform_work_group_size: 1
    .uses_dynamic_stack: false
    .vgpr_count:     191
    .vgpr_spill_count: 0
    .wavefront_size: 32
    .workgroup_processor_mode: 1
amdhsa.target:   amdgcn-amd-amdhsa--gfx1030
amdhsa.version:
  - 1
  - 2
...

	.end_amdgpu_metadata
